;; amdgpu-corpus repo=ROCm/rocFFT kind=compiled arch=gfx1030 opt=O3
	.text
	.amdgcn_target "amdgcn-amd-amdhsa--gfx1030"
	.amdhsa_code_object_version 6
	.protected	fft_rtc_back_len880_factors_2_2_2_2_11_5_wgs_176_tpt_88_halfLds_sp_ip_CI_sbrr_dirReg ; -- Begin function fft_rtc_back_len880_factors_2_2_2_2_11_5_wgs_176_tpt_88_halfLds_sp_ip_CI_sbrr_dirReg
	.globl	fft_rtc_back_len880_factors_2_2_2_2_11_5_wgs_176_tpt_88_halfLds_sp_ip_CI_sbrr_dirReg
	.p2align	8
	.type	fft_rtc_back_len880_factors_2_2_2_2_11_5_wgs_176_tpt_88_halfLds_sp_ip_CI_sbrr_dirReg,@function
fft_rtc_back_len880_factors_2_2_2_2_11_5_wgs_176_tpt_88_halfLds_sp_ip_CI_sbrr_dirReg: ; @fft_rtc_back_len880_factors_2_2_2_2_11_5_wgs_176_tpt_88_halfLds_sp_ip_CI_sbrr_dirReg
; %bb.0:
	s_clause 0x2
	s_load_dwordx2 s[14:15], s[4:5], 0x18
	s_load_dwordx4 s[8:11], s[4:5], 0x0
	s_load_dwordx2 s[12:13], s[4:5], 0x50
	v_mul_u32_u24_e32 v1, 0x2e9, v0
	v_mov_b32_e32 v3, 0
	v_lshrrev_b32_e32 v22, 16, v1
	v_mov_b32_e32 v1, 0
	v_mov_b32_e32 v6, v3
	v_mov_b32_e32 v2, 0
	v_lshl_add_u32 v5, s6, 1, v22
	s_waitcnt lgkmcnt(0)
	s_load_dwordx2 s[2:3], s[14:15], 0x0
	v_cmp_lt_u64_e64 s0, s[10:11], 2
	s_and_b32 vcc_lo, exec_lo, s0
	s_cbranch_vccnz .LBB0_8
; %bb.1:
	s_load_dwordx2 s[0:1], s[4:5], 0x10
	v_mov_b32_e32 v1, 0
	s_add_u32 s6, s14, 8
	v_mov_b32_e32 v2, 0
	s_addc_u32 s7, s15, 0
	s_mov_b64 s[18:19], 1
	s_waitcnt lgkmcnt(0)
	s_add_u32 s16, s0, 8
	s_addc_u32 s17, s1, 0
.LBB0_2:                                ; =>This Inner Loop Header: Depth=1
	s_load_dwordx2 s[20:21], s[16:17], 0x0
                                        ; implicit-def: $vgpr7_vgpr8
	s_mov_b32 s0, exec_lo
	s_waitcnt lgkmcnt(0)
	v_or_b32_e32 v4, s21, v6
	v_cmpx_ne_u64_e32 0, v[3:4]
	s_xor_b32 s1, exec_lo, s0
	s_cbranch_execz .LBB0_4
; %bb.3:                                ;   in Loop: Header=BB0_2 Depth=1
	v_cvt_f32_u32_e32 v4, s20
	v_cvt_f32_u32_e32 v7, s21
	s_sub_u32 s0, 0, s20
	s_subb_u32 s22, 0, s21
	v_fmac_f32_e32 v4, 0x4f800000, v7
	v_rcp_f32_e32 v4, v4
	v_mul_f32_e32 v4, 0x5f7ffffc, v4
	v_mul_f32_e32 v7, 0x2f800000, v4
	v_trunc_f32_e32 v7, v7
	v_fmac_f32_e32 v4, 0xcf800000, v7
	v_cvt_u32_f32_e32 v7, v7
	v_cvt_u32_f32_e32 v4, v4
	v_mul_lo_u32 v8, s0, v7
	v_mul_hi_u32 v9, s0, v4
	v_mul_lo_u32 v10, s22, v4
	v_add_nc_u32_e32 v8, v9, v8
	v_mul_lo_u32 v9, s0, v4
	v_add_nc_u32_e32 v8, v8, v10
	v_mul_hi_u32 v10, v4, v9
	v_mul_lo_u32 v11, v4, v8
	v_mul_hi_u32 v12, v4, v8
	v_mul_hi_u32 v13, v7, v9
	v_mul_lo_u32 v9, v7, v9
	v_mul_hi_u32 v14, v7, v8
	v_mul_lo_u32 v8, v7, v8
	v_add_co_u32 v10, vcc_lo, v10, v11
	v_add_co_ci_u32_e32 v11, vcc_lo, 0, v12, vcc_lo
	v_add_co_u32 v9, vcc_lo, v10, v9
	v_add_co_ci_u32_e32 v9, vcc_lo, v11, v13, vcc_lo
	v_add_co_ci_u32_e32 v10, vcc_lo, 0, v14, vcc_lo
	v_add_co_u32 v8, vcc_lo, v9, v8
	v_add_co_ci_u32_e32 v9, vcc_lo, 0, v10, vcc_lo
	v_add_co_u32 v4, vcc_lo, v4, v8
	v_add_co_ci_u32_e32 v7, vcc_lo, v7, v9, vcc_lo
	v_mul_hi_u32 v8, s0, v4
	v_mul_lo_u32 v10, s22, v4
	v_mul_lo_u32 v9, s0, v7
	v_add_nc_u32_e32 v8, v8, v9
	v_mul_lo_u32 v9, s0, v4
	v_add_nc_u32_e32 v8, v8, v10
	v_mul_hi_u32 v10, v4, v9
	v_mul_lo_u32 v11, v4, v8
	v_mul_hi_u32 v12, v4, v8
	v_mul_hi_u32 v13, v7, v9
	v_mul_lo_u32 v9, v7, v9
	v_mul_hi_u32 v14, v7, v8
	v_mul_lo_u32 v8, v7, v8
	v_add_co_u32 v10, vcc_lo, v10, v11
	v_add_co_ci_u32_e32 v11, vcc_lo, 0, v12, vcc_lo
	v_add_co_u32 v9, vcc_lo, v10, v9
	v_add_co_ci_u32_e32 v9, vcc_lo, v11, v13, vcc_lo
	v_add_co_ci_u32_e32 v10, vcc_lo, 0, v14, vcc_lo
	v_add_co_u32 v8, vcc_lo, v9, v8
	v_add_co_ci_u32_e32 v9, vcc_lo, 0, v10, vcc_lo
	v_add_co_u32 v4, vcc_lo, v4, v8
	v_add_co_ci_u32_e32 v11, vcc_lo, v7, v9, vcc_lo
	v_mul_hi_u32 v13, v5, v4
	v_mad_u64_u32 v[9:10], null, v6, v4, 0
	v_mad_u64_u32 v[7:8], null, v5, v11, 0
	;; [unrolled: 1-line block ×3, first 2 shown]
	v_add_co_u32 v4, vcc_lo, v13, v7
	v_add_co_ci_u32_e32 v7, vcc_lo, 0, v8, vcc_lo
	v_add_co_u32 v4, vcc_lo, v4, v9
	v_add_co_ci_u32_e32 v4, vcc_lo, v7, v10, vcc_lo
	v_add_co_ci_u32_e32 v7, vcc_lo, 0, v12, vcc_lo
	v_add_co_u32 v4, vcc_lo, v4, v11
	v_add_co_ci_u32_e32 v9, vcc_lo, 0, v7, vcc_lo
	v_mul_lo_u32 v10, s21, v4
	v_mad_u64_u32 v[7:8], null, s20, v4, 0
	v_mul_lo_u32 v11, s20, v9
	v_sub_co_u32 v7, vcc_lo, v5, v7
	v_add3_u32 v8, v8, v11, v10
	v_sub_nc_u32_e32 v10, v6, v8
	v_subrev_co_ci_u32_e64 v10, s0, s21, v10, vcc_lo
	v_add_co_u32 v11, s0, v4, 2
	v_add_co_ci_u32_e64 v12, s0, 0, v9, s0
	v_sub_co_u32 v13, s0, v7, s20
	v_sub_co_ci_u32_e32 v8, vcc_lo, v6, v8, vcc_lo
	v_subrev_co_ci_u32_e64 v10, s0, 0, v10, s0
	v_cmp_le_u32_e32 vcc_lo, s20, v13
	v_cmp_eq_u32_e64 s0, s21, v8
	v_cndmask_b32_e64 v13, 0, -1, vcc_lo
	v_cmp_le_u32_e32 vcc_lo, s21, v10
	v_cndmask_b32_e64 v14, 0, -1, vcc_lo
	v_cmp_le_u32_e32 vcc_lo, s20, v7
	;; [unrolled: 2-line block ×3, first 2 shown]
	v_cndmask_b32_e64 v15, 0, -1, vcc_lo
	v_cmp_eq_u32_e32 vcc_lo, s21, v10
	v_cndmask_b32_e64 v7, v15, v7, s0
	v_cndmask_b32_e32 v10, v14, v13, vcc_lo
	v_add_co_u32 v13, vcc_lo, v4, 1
	v_add_co_ci_u32_e32 v14, vcc_lo, 0, v9, vcc_lo
	v_cmp_ne_u32_e32 vcc_lo, 0, v10
	v_cndmask_b32_e32 v8, v14, v12, vcc_lo
	v_cndmask_b32_e32 v10, v13, v11, vcc_lo
	v_cmp_ne_u32_e32 vcc_lo, 0, v7
	v_cndmask_b32_e32 v8, v9, v8, vcc_lo
	v_cndmask_b32_e32 v7, v4, v10, vcc_lo
.LBB0_4:                                ;   in Loop: Header=BB0_2 Depth=1
	s_andn2_saveexec_b32 s0, s1
	s_cbranch_execz .LBB0_6
; %bb.5:                                ;   in Loop: Header=BB0_2 Depth=1
	v_cvt_f32_u32_e32 v4, s20
	s_sub_i32 s1, 0, s20
	v_rcp_iflag_f32_e32 v4, v4
	v_mul_f32_e32 v4, 0x4f7ffffe, v4
	v_cvt_u32_f32_e32 v4, v4
	v_mul_lo_u32 v7, s1, v4
	v_mul_hi_u32 v7, v4, v7
	v_add_nc_u32_e32 v4, v4, v7
	v_mul_hi_u32 v4, v5, v4
	v_mul_lo_u32 v7, v4, s20
	v_add_nc_u32_e32 v8, 1, v4
	v_sub_nc_u32_e32 v7, v5, v7
	v_subrev_nc_u32_e32 v9, s20, v7
	v_cmp_le_u32_e32 vcc_lo, s20, v7
	v_cndmask_b32_e32 v7, v7, v9, vcc_lo
	v_cndmask_b32_e32 v4, v4, v8, vcc_lo
	v_cmp_le_u32_e32 vcc_lo, s20, v7
	v_add_nc_u32_e32 v8, 1, v4
	v_cndmask_b32_e32 v7, v4, v8, vcc_lo
	v_mov_b32_e32 v8, v3
.LBB0_6:                                ;   in Loop: Header=BB0_2 Depth=1
	s_or_b32 exec_lo, exec_lo, s0
	s_load_dwordx2 s[0:1], s[6:7], 0x0
	v_mul_lo_u32 v4, v8, s20
	v_mul_lo_u32 v11, v7, s21
	v_mad_u64_u32 v[9:10], null, v7, s20, 0
	s_add_u32 s18, s18, 1
	s_addc_u32 s19, s19, 0
	s_add_u32 s6, s6, 8
	s_addc_u32 s7, s7, 0
	s_add_u32 s16, s16, 8
	s_addc_u32 s17, s17, 0
	v_add3_u32 v4, v10, v11, v4
	v_sub_co_u32 v5, vcc_lo, v5, v9
	v_sub_co_ci_u32_e32 v4, vcc_lo, v6, v4, vcc_lo
	s_waitcnt lgkmcnt(0)
	v_mul_lo_u32 v6, s1, v5
	v_mul_lo_u32 v4, s0, v4
	v_mad_u64_u32 v[1:2], null, s0, v5, v[1:2]
	v_cmp_ge_u64_e64 s0, s[18:19], s[10:11]
	s_and_b32 vcc_lo, exec_lo, s0
	v_add3_u32 v2, v6, v2, v4
	s_cbranch_vccnz .LBB0_9
; %bb.7:                                ;   in Loop: Header=BB0_2 Depth=1
	v_mov_b32_e32 v5, v7
	v_mov_b32_e32 v6, v8
	s_branch .LBB0_2
.LBB0_8:
	v_mov_b32_e32 v8, v6
	v_mov_b32_e32 v7, v5
.LBB0_9:
	s_lshl_b64 s[0:1], s[10:11], 3
	v_mul_hi_u32 v3, 0x2e8ba2f, v0
	s_add_u32 s0, s14, s0
	s_addc_u32 s1, s15, s1
	s_load_dwordx2 s[4:5], s[4:5], 0x20
	s_load_dwordx2 s[0:1], s[0:1], 0x0
                                        ; implicit-def: $vgpr39
                                        ; implicit-def: $vgpr38
                                        ; implicit-def: $vgpr37
	v_mul_u32_u24_e32 v3, 0x58, v3
	v_sub_nc_u32_e32 v24, v0, v3
	v_add_nc_u32_e32 v25, 0x58, v24
	v_add_nc_u32_e32 v26, 0xb0, v24
	;; [unrolled: 1-line block ×4, first 2 shown]
	s_waitcnt lgkmcnt(0)
	v_cmp_gt_u64_e32 vcc_lo, s[4:5], v[7:8]
	v_mul_lo_u32 v3, s0, v8
	v_mul_lo_u32 v4, s1, v7
	v_mad_u64_u32 v[0:1], null, s0, v7, v[1:2]
	v_cmp_le_u64_e64 s0, s[4:5], v[7:8]
                                        ; implicit-def: $sgpr4_sgpr5
	v_add3_u32 v1, v4, v1, v3
	s_and_saveexec_b32 s1, s0
	s_xor_b32 s0, exec_lo, s1
; %bb.10:
	v_add_nc_u32_e32 v39, 0x58, v24
	v_add_nc_u32_e32 v38, 0xb0, v24
	;; [unrolled: 1-line block ×4, first 2 shown]
	s_mov_b64 s[4:5], 0
; %bb.11:
	s_or_saveexec_b32 s1, s0
	v_mov_b32_e32 v2, s4
	v_lshlrev_b64 v[0:1], 3, v[0:1]
	v_mov_b32_e32 v4, s4
	v_mov_b32_e32 v19, s5
	;; [unrolled: 1-line block ×5, first 2 shown]
	v_add_nc_u32_e32 v28, 0x210, v24
	v_add_nc_u32_e32 v29, 0x2c0, v24
	v_mov_b32_e32 v5, s5
	v_mov_b32_e32 v18, s4
	;; [unrolled: 1-line block ×4, first 2 shown]
                                        ; implicit-def: $vgpr9
                                        ; implicit-def: $vgpr7
                                        ; implicit-def: $vgpr21
                                        ; implicit-def: $vgpr17
                                        ; implicit-def: $vgpr15
	s_xor_b32 exec_lo, exec_lo, s1
	s_cbranch_execz .LBB0_13
; %bb.12:
	v_add_nc_u32_e32 v12, 0x1b8, v24
	v_mad_u64_u32 v[2:3], null, s2, v24, 0
	v_mad_u64_u32 v[6:7], null, s2, v25, 0
	;; [unrolled: 1-line block ×4, first 2 shown]
	v_add_nc_u32_e32 v19, 0x268, v24
	v_add_co_u32 v35, s0, s12, v0
	v_add_co_ci_u32_e64 v36, s0, s13, v1, s0
	v_mad_u64_u32 v[10:11], null, s3, v24, v[3:4]
	v_mad_u64_u32 v[11:12], null, s3, v12, v[5:6]
	;; [unrolled: 1-line block ×3, first 2 shown]
	v_mov_b32_e32 v7, v9
	v_mad_u64_u32 v[13:14], null, s2, v26, 0
	v_mov_b32_e32 v3, v10
	v_mov_b32_e32 v5, v11
	v_mad_u64_u32 v[9:10], null, s3, v28, v[7:8]
	v_mov_b32_e32 v7, v12
	v_mad_u64_u32 v[11:12], null, s2, v19, 0
	v_lshlrev_b64 v[2:3], 3, v[2:3]
	v_mov_b32_e32 v10, v14
	v_lshlrev_b64 v[4:5], 3, v[4:5]
	v_lshlrev_b64 v[6:7], 3, v[6:7]
	;; [unrolled: 1-line block ×3, first 2 shown]
	v_add_nc_u32_e32 v33, 0x318, v24
	v_mad_u64_u32 v[14:15], null, s3, v26, v[10:11]
	v_mov_b32_e32 v10, v12
	v_add_co_u32 v2, s0, v35, v2
	v_mad_u64_u32 v[15:16], null, s2, v23, 0
	v_add_co_ci_u32_e64 v3, s0, v36, v3, s0
	v_add_co_u32 v4, s0, v35, v4
	v_mad_u64_u32 v[19:20], null, s3, v19, v[10:11]
	v_add_co_ci_u32_e64 v5, s0, v36, v5, s0
	v_mad_u64_u32 v[20:21], null, s2, v29, 0
	v_add_co_u32 v6, s0, v35, v6
	v_add_co_ci_u32_e64 v7, s0, v36, v7, s0
	v_mov_b32_e32 v10, v16
	v_add_co_u32 v17, s0, v35, v8
	v_add_co_ci_u32_e64 v18, s0, v36, v9, s0
	s_clause 0x3
	global_load_dwordx2 v[2:3], v[2:3], off
	global_load_dwordx2 v[8:9], v[4:5], off
	;; [unrolled: 1-line block ×4, first 2 shown]
	v_mad_u64_u32 v[16:17], null, s3, v23, v[10:11]
	v_mov_b32_e32 v10, v21
	v_mad_u64_u32 v[17:18], null, s2, v27, 0
	v_mov_b32_e32 v12, v19
	v_lshlrev_b64 v[13:14], 3, v[13:14]
	v_mad_u64_u32 v[30:31], null, s3, v29, v[10:11]
	v_mad_u64_u32 v[31:32], null, s2, v33, 0
	v_lshlrev_b64 v[11:12], 3, v[11:12]
	v_mov_b32_e32 v10, v18
	v_add_co_u32 v13, s0, v35, v13
	v_add_co_ci_u32_e64 v14, s0, v36, v14, s0
	v_mov_b32_e32 v21, v30
	v_mad_u64_u32 v[18:19], null, s3, v27, v[10:11]
	v_mov_b32_e32 v10, v32
	v_add_co_u32 v11, s0, v35, v11
	v_lshlrev_b64 v[15:16], 3, v[15:16]
	v_lshlrev_b64 v[19:20], 3, v[20:21]
	v_add_co_ci_u32_e64 v12, s0, v36, v12, s0
	v_mad_u64_u32 v[32:33], null, s3, v33, v[10:11]
	v_add_co_u32 v15, s0, v35, v15
	v_add_co_ci_u32_e64 v16, s0, v36, v16, s0
	v_lshlrev_b64 v[17:18], 3, v[17:18]
	v_add_co_u32 v33, s0, v35, v19
	v_add_co_ci_u32_e64 v34, s0, v36, v20, s0
	v_lshlrev_b64 v[19:20], 3, v[31:32]
	v_add_co_u32 v30, s0, v35, v17
	v_add_co_ci_u32_e64 v31, s0, v36, v18, s0
	v_mov_b32_e32 v37, v27
	v_add_co_u32 v35, s0, v35, v19
	v_add_co_ci_u32_e64 v36, s0, v36, v20, s0
	s_clause 0x5
	global_load_dwordx2 v[18:19], v[13:14], off
	global_load_dwordx2 v[20:21], v[11:12], off
	;; [unrolled: 1-line block ×6, first 2 shown]
	v_mov_b32_e32 v38, v26
	v_mov_b32_e32 v39, v25
.LBB0_13:
	s_or_b32 exec_lo, exec_lo, s1
	v_and_b32_e32 v22, 1, v22
	s_waitcnt vmcnt(6)
	v_sub_f32_e32 v41, v5, v7
	v_sub_f32_e32 v31, v2, v8
	s_waitcnt vmcnt(0)
	v_sub_f32_e32 v43, v13, v17
	v_sub_f32_e32 v33, v12, v16
	v_cmp_eq_u32_e64 s0, 1, v22
	v_sub_f32_e32 v22, v4, v6
	v_sub_f32_e32 v6, v18, v20
	;; [unrolled: 1-line block ×3, first 2 shown]
	v_fma_f32 v40, v5, 2.0, -v41
	v_cndmask_b32_e64 v36, 0, 0x370, s0
	v_fma_f32 v21, v4, 2.0, -v22
	v_fma_f32 v5, v18, 2.0, -v6
	v_sub_f32_e32 v18, v10, v14
	v_fma_f32 v30, v2, 2.0, -v31
	v_lshl_add_u32 v4, v36, 2, 0
	v_fma_f32 v42, v13, 2.0, -v43
	v_lshlrev_b32_e32 v2, 2, v24
	v_fma_f32 v17, v10, 2.0, -v18
	v_sub_f32_e32 v15, v11, v15
	v_lshl_add_u32 v16, v24, 3, v4
	v_lshl_add_u32 v13, v39, 3, v4
	;; [unrolled: 1-line block ×4, first 2 shown]
	v_fma_f32 v32, v12, 2.0, -v33
	v_lshl_add_u32 v46, v37, 3, v4
	v_sub_f32_e32 v8, v3, v9
	ds_write_b64 v16, v[30:31]
	ds_write_b64 v13, v[21:22]
	v_sub_nc_u32_e32 v31, v16, v2
	ds_write_b64 v44, v[5:6]
	ds_write_b64 v45, v[17:18]
	;; [unrolled: 1-line block ×3, first 2 shown]
	v_lshlrev_b32_e32 v6, 2, v38
	v_and_b32_e32 v50, 1, v24
	v_fma_f32 v14, v11, 2.0, -v15
	v_lshlrev_b32_e32 v11, 2, v23
	v_lshlrev_b32_e32 v12, 2, v37
	v_fma_f32 v7, v3, 2.0, -v8
	v_lshlrev_b32_e32 v3, 2, v39
	v_add_nc_u32_e32 v30, v4, v2
	v_add_nc_u32_e32 v5, 0x800, v31
	v_sub_nc_u32_e32 v32, v44, v6
	v_lshlrev_b32_e32 v6, 3, v50
	v_add_nc_u32_e32 v21, 0x600, v31
	v_fma_f32 v19, v19, 2.0, -v20
	v_sub_nc_u32_e32 v34, v45, v11
	v_sub_nc_u32_e32 v35, v46, v12
	;; [unrolled: 1-line block ×3, first 2 shown]
	s_waitcnt lgkmcnt(0)
	s_barrier
	buffer_gl0_inv
	ds_read_b32 v17, v30
	ds_read2_b32 v[9:10], v21 offset0:56 offset1:144
	ds_read2_b32 v[11:12], v5 offset0:104 offset1:192
	ds_read_b32 v18, v32
	ds_read_b32 v22, v34
	;; [unrolled: 1-line block ×4, first 2 shown]
	ds_read_b32 v49, v31 offset:3168
	s_waitcnt lgkmcnt(0)
	s_barrier
	buffer_gl0_inv
	ds_write_b64 v16, v[7:8]
	ds_write_b64 v13, v[40:41]
	;; [unrolled: 1-line block ×5, first 2 shown]
	s_waitcnt lgkmcnt(0)
	s_barrier
	buffer_gl0_inv
	global_load_dwordx2 v[6:7], v6, s[8:9]
	ds_read2_b32 v[13:14], v21 offset0:56 offset1:144
	v_lshlrev_b32_e32 v45, 1, v39
	v_lshlrev_b32_e32 v46, 1, v38
	;; [unrolled: 1-line block ×3, first 2 shown]
	ds_read_b32 v37, v30
	ds_read2_b32 v[15:16], v5 offset0:104 offset1:192
	ds_read_b32 v38, v32
	ds_read_b32 v39, v34
	;; [unrolled: 1-line block ×4, first 2 shown]
	ds_read_b32 v42, v31 offset:3168
	v_lshlrev_b32_e32 v43, 1, v24
	v_lshlrev_b32_e32 v51, 1, v23
	v_and_b32_e32 v19, 3, v24
	v_and_or_b32 v20, 0x1fc, v45, v50
	v_and_or_b32 v23, 0x3fc, v46, v50
	;; [unrolled: 1-line block ×5, first 2 shown]
	v_lshlrev_b32_e32 v53, 3, v19
	v_lshl_add_u32 v20, v20, 2, v4
	v_lshl_add_u32 v54, v8, 2, v4
	;; [unrolled: 1-line block ×5, first 2 shown]
	s_waitcnt vmcnt(0) lgkmcnt(0)
	s_barrier
	buffer_gl0_inv
	v_cmp_gt_u32_e64 s0, 0x50, v24
	v_mul_f32_e32 v8, v13, v7
	v_mul_f32_e32 v55, v9, v7
	;; [unrolled: 1-line block ×10, first 2 shown]
	v_fmac_f32_e32 v8, v9, v6
	v_fma_f32 v9, v13, v6, -v55
	v_fmac_f32_e32 v56, v10, v6
	v_fma_f32 v10, v14, v6, -v57
	v_fmac_f32_e32 v58, v11, v6
	v_fma_f32 v11, v15, v6, -v59
	v_fmac_f32_e32 v60, v12, v6
	v_fma_f32 v12, v16, v6, -v61
	v_fmac_f32_e32 v62, v49, v6
	v_fma_f32 v6, v42, v6, -v7
	v_sub_f32_e32 v7, v17, v8
	v_sub_f32_e32 v13, v37, v9
	;; [unrolled: 1-line block ×10, first 2 shown]
	v_fma_f32 v6, v17, 2.0, -v7
	v_fma_f32 v17, v37, 2.0, -v13
	;; [unrolled: 1-line block ×10, first 2 shown]
	ds_write2_b32 v54, v6, v7 offset1:2
	ds_write2_b32 v20, v37, v8 offset1:2
	;; [unrolled: 1-line block ×5, first 2 shown]
	s_waitcnt lgkmcnt(0)
	s_barrier
	buffer_gl0_inv
	ds_read_b32 v18, v30
	ds_read2_b32 v[6:7], v21 offset0:56 offset1:144
	ds_read2_b32 v[8:9], v5 offset0:104 offset1:192
	ds_read_b32 v22, v32
	ds_read_b32 v37, v34
	;; [unrolled: 1-line block ×4, first 2 shown]
	ds_read_b32 v48, v31 offset:3168
	s_waitcnt lgkmcnt(0)
	s_barrier
	buffer_gl0_inv
	ds_write2_b32 v54, v17, v13 offset1:2
	ds_write2_b32 v20, v41, v10 offset1:2
	ds_write2_b32 v23, v38, v11 offset1:2
	ds_write2_b32 v44, v39, v12 offset1:2
	ds_write2_b32 v50, v40, v16 offset1:2
	s_waitcnt lgkmcnt(0)
	s_barrier
	buffer_gl0_inv
	global_load_dwordx2 v[10:11], v53, s[8:9] offset:16
	ds_read2_b32 v[12:13], v21 offset0:56 offset1:144
	ds_read_b32 v23, v30
	ds_read2_b32 v[14:15], v5 offset0:104 offset1:192
	ds_read_b32 v38, v32
	ds_read_b32 v39, v34
	;; [unrolled: 1-line block ×4, first 2 shown]
	ds_read_b32 v44, v31 offset:3168
	v_and_or_b32 v16, 0xf8, v43, v19
	v_and_or_b32 v17, 0x1f8, v45, v19
	v_and_b32_e32 v49, 7, v24
	v_and_or_b32 v20, 0x3f8, v46, v19
	v_and_or_b32 v50, 0x3f8, v51, v19
	v_lshl_add_u32 v54, v16, 2, v4
	v_lshl_add_u32 v55, v17, 2, v4
	v_and_or_b32 v19, 0x3f8, v52, v19
	v_lshlrev_b32_e32 v53, 3, v49
	v_lshl_add_u32 v20, v20, 2, v4
	v_lshl_add_u32 v50, v50, 2, v4
	s_waitcnt vmcnt(0) lgkmcnt(0)
	v_lshl_add_u32 v19, v19, 2, v4
	s_barrier
	buffer_gl0_inv
	v_mul_f32_e32 v16, v12, v11
	v_mul_f32_e32 v17, v6, v11
	;; [unrolled: 1-line block ×10, first 2 shown]
	v_fmac_f32_e32 v16, v6, v10
	v_fma_f32 v6, v12, v10, -v17
	v_fmac_f32_e32 v56, v7, v10
	v_fma_f32 v7, v13, v10, -v57
	;; [unrolled: 2-line block ×5, first 2 shown]
	v_sub_f32_e32 v11, v18, v16
	v_sub_f32_e32 v6, v23, v6
	;; [unrolled: 1-line block ×10, first 2 shown]
	v_fma_f32 v16, v18, 2.0, -v11
	v_fma_f32 v18, v23, 2.0, -v6
	;; [unrolled: 1-line block ×10, first 2 shown]
	ds_write2_b32 v54, v16, v11 offset1:4
	ds_write2_b32 v55, v17, v12 offset1:4
	;; [unrolled: 1-line block ×5, first 2 shown]
	s_waitcnt lgkmcnt(0)
	s_barrier
	buffer_gl0_inv
	ds_read_b32 v11, v30
	ds_read2_b32 v[16:17], v21 offset0:56 offset1:144
	ds_read2_b32 v[14:15], v5 offset0:104 offset1:192
	ds_read_b32 v56, v32
	ds_read_b32 v57, v34
	;; [unrolled: 1-line block ×4, first 2 shown]
	ds_read_b32 v39, v31 offset:3168
	s_waitcnt lgkmcnt(0)
	s_barrier
	buffer_gl0_inv
	ds_write2_b32 v54, v18, v6 offset1:4
	ds_write2_b32 v55, v23, v7 offset1:4
	;; [unrolled: 1-line block ×5, first 2 shown]
	s_waitcnt lgkmcnt(0)
	s_barrier
	buffer_gl0_inv
	global_load_dwordx2 v[18:19], v53, s[8:9] offset:48
	ds_read2_b32 v[22:23], v21 offset0:56 offset1:144
	ds_read2_b32 v[20:21], v5 offset0:104 offset1:192
	ds_read_b32 v37, v32
	ds_read_b32 v38, v34
	;; [unrolled: 1-line block ×4, first 2 shown]
	ds_read_b32 v44, v31 offset:3168
	ds_read_b32 v42, v30
	v_and_or_b32 v6, 0xf0, v43, v49
	v_and_or_b32 v7, 0x1f0, v45, v49
	;; [unrolled: 1-line block ×5, first 2 shown]
	v_lshl_add_u32 v45, v6, 2, v4
	v_lshl_add_u32 v46, v7, 2, v4
	;; [unrolled: 1-line block ×5, first 2 shown]
	s_waitcnt vmcnt(0) lgkmcnt(0)
	s_barrier
	buffer_gl0_inv
	v_mul_f32_e32 v4, v22, v19
	v_mul_f32_e32 v6, v23, v19
	;; [unrolled: 1-line block ×5, first 2 shown]
	v_fmac_f32_e32 v4, v16, v18
	v_fmac_f32_e32 v6, v17, v18
	;; [unrolled: 1-line block ×5, first 2 shown]
	v_sub_f32_e32 v12, v11, v4
	v_sub_f32_e32 v10, v13, v6
	;; [unrolled: 1-line block ×5, first 2 shown]
	v_fma_f32 v43, v11, 2.0, -v12
	v_fma_f32 v13, v13, 2.0, -v10
	;; [unrolled: 1-line block ×5, first 2 shown]
	ds_write2_b32 v45, v43, v12 offset1:8
	ds_write2_b32 v46, v13, v10 offset1:8
	;; [unrolled: 1-line block ×5, first 2 shown]
	s_waitcnt lgkmcnt(0)
	s_barrier
	buffer_gl0_inv
	s_and_saveexec_b32 s1, s0
	s_cbranch_execz .LBB0_15
; %bb.14:
	v_add_nc_u32_e32 v4, 0x200, v31
	v_add_nc_u32_e32 v6, 0x400, v31
	;; [unrolled: 1-line block ×3, first 2 shown]
	ds_read_b32 v43, v30
	ds_read2_b32 v[12:13], v31 offset0:80 offset1:160
	ds_read2_b32 v[10:11], v4 offset0:112 offset1:192
	;; [unrolled: 1-line block ×5, first 2 shown]
.LBB0_15:
	s_or_b32 exec_lo, exec_lo, s1
	v_mul_f32_e32 v16, v16, v19
	v_mul_f32_e32 v17, v17, v19
	;; [unrolled: 1-line block ×5, first 2 shown]
	v_fma_f32 v16, v22, v18, -v16
	v_fma_f32 v17, v23, v18, -v17
	v_fma_f32 v14, v20, v18, -v14
	v_fma_f32 v15, v21, v18, -v15
	v_fma_f32 v19, v44, v18, -v19
	v_sub_f32_e32 v22, v42, v16
	v_sub_f32_e32 v20, v41, v17
	;; [unrolled: 1-line block ×5, first 2 shown]
	v_fma_f32 v39, v42, 2.0, -v22
	v_fma_f32 v23, v41, 2.0, -v20
	;; [unrolled: 1-line block ×5, first 2 shown]
	s_waitcnt lgkmcnt(0)
	s_barrier
	buffer_gl0_inv
	ds_write2_b32 v45, v39, v22 offset1:8
	ds_write2_b32 v46, v23, v20 offset1:8
	;; [unrolled: 1-line block ×5, first 2 shown]
	s_waitcnt lgkmcnt(0)
	s_barrier
	buffer_gl0_inv
	s_and_saveexec_b32 s1, s0
	s_cbranch_execz .LBB0_17
; %bb.16:
	v_add_nc_u32_e32 v14, 0x200, v31
	v_add_nc_u32_e32 v15, 0x400, v31
	;; [unrolled: 1-line block ×4, first 2 shown]
	ds_read_b32 v39, v30
	ds_read2_b32 v[22:23], v31 offset0:80 offset1:160
	ds_read2_b32 v[20:21], v14 offset0:112 offset1:192
	ds_read2_b32 v[18:19], v15 offset0:144 offset1:224
	ds_read2_b32 v[16:17], v16 offset0:48 offset1:128
	ds_read2_b32 v[14:15], v37 offset0:80 offset1:160
.LBB0_17:
	s_or_b32 exec_lo, exec_lo, s1
	v_and_b32_e32 v37, 15, v24
	v_mul_u32_u24_e32 v38, 10, v37
	v_lshlrev_b32_e32 v38, 3, v38
	s_clause 0x4
	global_load_dwordx4 v[51:54], v38, s[8:9] offset:112
	global_load_dwordx4 v[55:58], v38, s[8:9] offset:128
	;; [unrolled: 1-line block ×5, first 2 shown]
	v_lshrrev_b32_e32 v38, 4, v24
	s_waitcnt vmcnt(0) lgkmcnt(0)
	s_barrier
	buffer_gl0_inv
	v_mul_f32_e32 v49, v22, v52
	v_mul_f32_e32 v52, v12, v52
	;; [unrolled: 1-line block ×20, first 2 shown]
	v_fmac_f32_e32 v49, v12, v51
	v_fmac_f32_e32 v47, v13, v53
	v_fma_f32 v51, v22, v51, -v52
	v_fma_f32 v23, v23, v53, -v54
	v_fmac_f32_e32 v45, v10, v55
	v_fmac_f32_e32 v42, v11, v57
	v_fma_f32 v22, v20, v55, -v56
	v_fma_f32 v20, v21, v57, -v58
	v_fmac_f32_e32 v40, v8, v59
	v_fma_f32 v18, v18, v59, -v60
	v_fmac_f32_e32 v41, v9, v61
	;; [unrolled: 2-line block ×6, first 2 shown]
	v_fma_f32 v15, v15, v69, -v70
	v_lshlrev_b32_e32 v4, 2, v36
	s_and_saveexec_b32 s1, s0
	s_cbranch_execz .LBB0_19
; %bb.18:
	v_sub_f32_e32 v5, v51, v15
	v_add_f32_e32 v6, v49, v50
	v_sub_f32_e32 v8, v23, v21
	v_add_f32_e32 v7, v47, v48
	v_sub_f32_e32 v11, v22, v17
	v_mul_f32_e32 v10, 0xbe903f40, v5
	v_add_f32_e32 v9, v45, v46
	v_mul_f32_e32 v14, 0x3f0a6770, v8
	v_sub_f32_e32 v13, v20, v16
	v_mul_f32_e32 v54, 0xbf4178ce, v11
	v_fma_f32 v36, 0xbf75a155, v6, -v10
	v_add_f32_e32 v12, v42, v44
	v_fma_f32 v55, 0x3f575c64, v7, -v14
	v_sub_f32_e32 v53, v18, v19
	v_mul_f32_e32 v56, 0x3f68dda4, v13
	v_add_f32_e32 v36, v43, v36
	v_fmac_f32_e32 v10, 0xbf75a155, v6
	v_fma_f32 v58, 0xbf27a4f4, v9, -v54
	v_add_f32_e32 v52, v40, v41
	v_mul_f32_e32 v57, 0xbf7d64f0, v53
	v_add_f32_e32 v36, v55, v36
	v_mul_f32_e32 v55, 0xbf4178ce, v5
	v_fmac_f32_e32 v14, 0x3f575c64, v7
	v_add_f32_e32 v10, v43, v10
	v_fma_f32 v59, 0x3ed4b147, v12, -v56
	v_add_f32_e32 v36, v58, v36
	v_fma_f32 v58, 0xbe11bafb, v52, -v57
	v_fmac_f32_e32 v54, 0xbf27a4f4, v9
	v_add_f32_e32 v10, v14, v10
	v_fma_f32 v14, 0xbf27a4f4, v6, -v55
	v_add_f32_e32 v36, v59, v36
	v_mul_f32_e32 v59, 0x3f7d64f0, v8
	v_fmac_f32_e32 v56, 0x3ed4b147, v12
	v_add_f32_e32 v10, v54, v10
	v_add_f32_e32 v14, v43, v14
	;; [unrolled: 1-line block ×3, first 2 shown]
	v_fma_f32 v54, 0xbe11bafb, v7, -v59
	v_mul_f32_e32 v58, 0xbf0a6770, v11
	v_add_f32_e32 v10, v56, v10
	v_fmac_f32_e32 v57, 0xbe11bafb, v52
	v_fmac_f32_e32 v55, 0xbf27a4f4, v6
	v_add_f32_e32 v14, v54, v14
	v_fma_f32 v54, 0x3f575c64, v9, -v58
	v_mul_f32_e32 v56, 0xbe903f40, v13
	v_add_f32_e32 v10, v57, v10
	v_add_f32_e32 v55, v43, v55
	v_fmac_f32_e32 v59, 0xbe11bafb, v7
	v_add_f32_e32 v14, v54, v14
	v_fma_f32 v54, 0xbf75a155, v12, -v56
	v_mul_f32_e32 v57, 0xbf7d64f0, v5
	v_fmac_f32_e32 v58, 0x3f575c64, v9
	v_add_f32_e32 v55, v59, v55
	v_mul_f32_e32 v59, 0x3e903f40, v8
	v_add_f32_e32 v14, v54, v14
	v_fma_f32 v54, 0xbe11bafb, v6, -v57
	v_fmac_f32_e32 v57, 0xbe11bafb, v6
	v_mul_f32_e32 v60, 0x3f68dda4, v53
	v_add_f32_e32 v55, v58, v55
	v_fmac_f32_e32 v56, 0xbf75a155, v12
	v_add_f32_e32 v54, v43, v54
	v_fma_f32 v58, 0xbf75a155, v7, -v59
	v_mul_f32_e32 v62, 0x3f68dda4, v11
	v_add_f32_e32 v57, v43, v57
	v_fmac_f32_e32 v59, 0xbf75a155, v7
	v_fma_f32 v61, 0x3ed4b147, v52, -v60
	v_add_f32_e32 v55, v56, v55
	v_add_f32_e32 v54, v58, v54
	v_fma_f32 v56, 0x3ed4b147, v9, -v62
	v_mul_f32_e32 v58, 0xbf0a6770, v13
	v_fmac_f32_e32 v60, 0x3ed4b147, v52
	v_add_f32_e32 v57, v59, v57
	v_fmac_f32_e32 v62, 0x3ed4b147, v9
	v_add_f32_e32 v54, v56, v54
	v_fma_f32 v56, 0x3f575c64, v12, -v58
	v_add_f32_e32 v55, v60, v55
	v_mul_f32_e32 v60, 0xbf4178ce, v53
	v_add_f32_e32 v57, v62, v57
	v_fmac_f32_e32 v58, 0x3f575c64, v12
	v_add_f32_e32 v14, v61, v14
	v_mul_f32_e32 v61, 0xbf68dda4, v5
	v_fma_f32 v64, 0xbf27a4f4, v52, -v60
	v_fmac_f32_e32 v60, 0xbf27a4f4, v52
	v_add_f32_e32 v57, v58, v57
	v_add_f32_e32 v54, v56, v54
	v_fma_f32 v56, 0x3ed4b147, v6, -v61
	v_mul_f32_e32 v59, 0xbf4178ce, v8
	v_fmac_f32_e32 v61, 0x3ed4b147, v6
	v_add_f32_e32 v57, v60, v57
	v_add_f32_e32 v60, v43, v49
	v_mul_f32_e32 v63, 0x3e903f40, v11
	v_fma_f32 v62, 0xbf27a4f4, v7, -v59
	v_add_f32_e32 v61, v43, v61
	v_fmac_f32_e32 v59, 0xbf27a4f4, v7
	v_add_f32_e32 v60, v60, v47
	v_add_f32_e32 v56, v43, v56
	v_fma_f32 v58, 0xbf75a155, v9, -v63
	v_fmac_f32_e32 v63, 0xbf75a155, v9
	v_add_f32_e32 v59, v59, v61
	v_mul_f32_e32 v5, 0xbf0a6770, v5
	v_add_f32_e32 v60, v60, v45
	v_add_f32_e32 v56, v62, v56
	v_mul_f32_e32 v62, 0x3f7d64f0, v13
	v_add_f32_e32 v59, v63, v59
	v_fma_f32 v63, 0x3f575c64, v6, -v5
	v_fmac_f32_e32 v5, 0x3f575c64, v6
	v_add_f32_e32 v6, v60, v42
	v_add_f32_e32 v56, v58, v56
	v_fma_f32 v58, 0xbe11bafb, v12, -v62
	v_fmac_f32_e32 v62, 0xbe11bafb, v12
	v_mul_f32_e32 v8, 0xbf68dda4, v8
	v_add_f32_e32 v6, v6, v40
	v_mul_f32_e32 v11, 0xbf7d64f0, v11
	v_add_f32_e32 v5, v43, v5
	v_add_f32_e32 v59, v62, v59
	v_fma_f32 v62, 0x3ed4b147, v7, -v8
	v_fmac_f32_e32 v8, 0x3ed4b147, v7
	v_add_f32_e32 v6, v6, v41
	v_add_f32_e32 v56, v58, v56
	v_mul_f32_e32 v58, 0x3f0a6770, v53
	v_add_f32_e32 v60, v43, v63
	v_mul_f32_e32 v13, 0xbf4178ce, v13
	v_fma_f32 v43, 0xbe11bafb, v9, -v11
	v_add_f32_e32 v5, v8, v5
	v_fmac_f32_e32 v11, 0xbe11bafb, v9
	v_mul_f32_e32 v9, 0xbe903f40, v53
	v_add_f32_e32 v6, v6, v44
	v_mul_u32_u24_e32 v53, 0xb0, v38
	v_add_f32_e32 v7, v62, v60
	v_fma_f32 v8, 0xbf27a4f4, v12, -v13
	v_add_f32_e32 v5, v11, v5
	v_fmac_f32_e32 v13, 0xbf27a4f4, v12
	v_add_f32_e32 v6, v6, v46
	v_or_b32_e32 v11, v53, v37
	v_add_f32_e32 v7, v43, v7
	v_fma_f32 v12, 0xbf75a155, v52, -v9
	v_add_f32_e32 v5, v13, v5
	v_fmac_f32_e32 v9, 0xbf75a155, v52
	v_add_f32_e32 v6, v6, v48
	v_lshlrev_b32_e32 v11, 2, v11
	v_fma_f32 v61, 0x3f575c64, v52, -v58
	v_fmac_f32_e32 v58, 0x3f575c64, v52
	v_add_f32_e32 v7, v8, v7
	v_add_f32_e32 v5, v9, v5
	;; [unrolled: 1-line block ×3, first 2 shown]
	v_add3_u32 v8, 0, v11, v4
	v_add_f32_e32 v9, v58, v59
	v_add_f32_e32 v11, v64, v54
	v_add_f32_e32 v13, v61, v56
	v_add_f32_e32 v7, v12, v7
	ds_write2_b32 v8, v6, v5 offset1:16
	ds_write2_b32 v8, v9, v57 offset0:32 offset1:48
	ds_write2_b32 v8, v55, v10 offset0:64 offset1:80
	;; [unrolled: 1-line block ×4, first 2 shown]
	ds_write_b32 v8, v7 offset:640
.LBB0_19:
	s_or_b32 exec_lo, exec_lo, s1
	v_add_nc_u32_e32 v5, 0x600, v31
	v_add_nc_u32_e32 v7, 0x800, v31
	s_waitcnt lgkmcnt(0)
	s_barrier
	buffer_gl0_inv
	ds_read_b32 v9, v30
	ds_read2_b32 v[5:6], v5 offset0:56 offset1:144
	ds_read2_b32 v[7:8], v7 offset0:104 offset1:192
	ds_read_b32 v11, v35
	ds_read_b32 v13, v34
	;; [unrolled: 1-line block ×4, first 2 shown]
	ds_read_b32 v14, v31 offset:3168
	s_waitcnt lgkmcnt(0)
	s_barrier
	buffer_gl0_inv
	s_and_saveexec_b32 s1, s0
	s_cbranch_execz .LBB0_21
; %bb.20:
	v_add_f32_e32 v36, v39, v51
	v_sub_f32_e32 v49, v49, v50
	v_add_f32_e32 v50, v23, v21
	v_add_f32_e32 v43, v51, v15
	v_sub_f32_e32 v47, v47, v48
	v_add_f32_e32 v23, v36, v23
	v_sub_f32_e32 v45, v45, v46
	v_mul_f32_e32 v53, 0x3ed4b147, v50
	v_mul_f32_e32 v36, 0x3f575c64, v43
	;; [unrolled: 1-line block ×3, first 2 shown]
	v_add_f32_e32 v23, v23, v22
	v_mul_f32_e32 v51, 0xbe11bafb, v43
	v_mul_f32_e32 v52, 0xbf27a4f4, v43
	;; [unrolled: 1-line block ×3, first 2 shown]
	v_fmamk_f32 v56, v49, 0x3f0a6770, v36
	v_add_f32_e32 v23, v23, v20
	v_fmac_f32_e32 v36, 0xbf0a6770, v49
	v_mul_f32_e32 v54, 0xbf27a4f4, v50
	v_fmamk_f32 v57, v49, 0x3f68dda4, v48
	v_fmac_f32_e32 v48, 0xbf68dda4, v49
	v_add_f32_e32 v23, v23, v18
	v_fmamk_f32 v58, v49, 0x3f7d64f0, v51
	v_fmac_f32_e32 v51, 0xbf7d64f0, v49
	v_fmamk_f32 v59, v49, 0x3f4178ce, v52
	v_fmac_f32_e32 v52, 0xbf4178ce, v49
	v_add_f32_e32 v23, v23, v19
	v_fmamk_f32 v60, v49, 0x3e903f40, v43
	v_fmac_f32_e32 v43, 0xbe903f40, v49
	v_fmamk_f32 v49, v47, 0x3f68dda4, v53
	v_fmac_f32_e32 v53, 0xbf68dda4, v47
	v_add_f32_e32 v23, v23, v16
	v_add_f32_e32 v36, v39, v36
	v_fmamk_f32 v61, v47, 0x3f4178ce, v54
	v_add_f32_e32 v48, v39, v48
	v_fmac_f32_e32 v54, 0xbf4178ce, v47
	v_add_f32_e32 v23, v23, v17
	v_mul_f32_e32 v55, 0xbf75a155, v50
	v_add_f32_e32 v56, v39, v56
	v_add_f32_e32 v59, v39, v59
	;; [unrolled: 1-line block ×10, first 2 shown]
	v_mul_f32_e32 v36, 0xbe11bafb, v50
	v_mul_f32_e32 v50, 0x3f575c64, v50
	v_add_f32_e32 v23, v39, v52
	v_add_f32_e32 v52, v39, v60
	;; [unrolled: 1-line block ×3, first 2 shown]
	v_fmamk_f32 v54, v47, 0xbf7d64f0, v36
	v_add_f32_e32 v43, v49, v56
	v_fmamk_f32 v49, v47, 0xbe903f40, v55
	v_fmac_f32_e32 v55, 0x3e903f40, v47
	v_fmac_f32_e32 v36, 0x3f7d64f0, v47
	v_add_f32_e32 v22, v54, v59
	v_fmamk_f32 v54, v47, 0xbf0a6770, v50
	v_mul_f32_e32 v46, 0xbe11bafb, v17
	v_fmac_f32_e32 v50, 0x3f0a6770, v47
	v_mul_f32_e32 v47, 0xbf75a155, v17
	v_add_f32_e32 v23, v36, v23
	v_add_f32_e32 v36, v54, v52
	v_fmamk_f32 v52, v45, 0x3f7d64f0, v46
	v_add_f32_e32 v39, v50, v39
	v_fmac_f32_e32 v46, 0xbf7d64f0, v45
	v_mul_f32_e32 v50, 0x3ed4b147, v17
	v_fmamk_f32 v54, v45, 0xbe903f40, v47
	v_fmac_f32_e32 v47, 0x3e903f40, v45
	v_add_f32_e32 v49, v49, v58
	v_add_f32_e32 v51, v55, v51
	;; [unrolled: 1-line block ×3, first 2 shown]
	v_fmamk_f32 v46, v45, 0xbf68dda4, v50
	v_fmac_f32_e32 v50, 0x3f68dda4, v45
	v_add_f32_e32 v47, v47, v48
	v_mul_f32_e32 v48, 0x3f575c64, v17
	v_mul_f32_e32 v17, 0xbf27a4f4, v17
	v_add_f32_e32 v16, v20, v16
	v_add_f32_e32 v46, v46, v49
	;; [unrolled: 1-line block ×3, first 2 shown]
	v_fmamk_f32 v20, v45, 0x3f0a6770, v48
	v_fmac_f32_e32 v48, 0xbf0a6770, v45
	v_fmamk_f32 v50, v45, 0x3f4178ce, v17
	v_sub_f32_e32 v42, v42, v44
	v_mul_f32_e32 v44, 0xbf27a4f4, v16
	v_add_f32_e32 v43, v52, v43
	v_add_f32_e32 v20, v20, v22
	v_fmac_f32_e32 v17, 0xbf4178ce, v45
	v_add_f32_e32 v22, v48, v23
	v_add_f32_e32 v23, v50, v36
	v_fmamk_f32 v36, v42, 0x3f4178ce, v44
	v_mul_f32_e32 v45, 0xbe11bafb, v16
	v_add_f32_e32 v17, v17, v39
	v_fmac_f32_e32 v44, 0xbf4178ce, v42
	v_mul_f32_e32 v39, 0x3f575c64, v16
	v_add_f32_e32 v36, v36, v43
	v_fmamk_f32 v43, v42, 0xbf7d64f0, v45
	v_fmac_f32_e32 v45, 0x3f7d64f0, v42
	v_add_f32_e32 v18, v18, v19
	v_add_f32_e32 v53, v61, v57
	;; [unrolled: 1-line block ×3, first 2 shown]
	v_fmamk_f32 v44, v42, 0x3f0a6770, v39
	v_add_f32_e32 v45, v45, v47
	v_mul_f32_e32 v47, 0xbf75a155, v16
	v_mul_f32_e32 v16, 0x3ed4b147, v16
	v_sub_f32_e32 v40, v40, v41
	v_mul_f32_e32 v41, 0xbf75a155, v18
	v_add_f32_e32 v52, v54, v53
	v_fmamk_f32 v19, v42, 0x3e903f40, v47
	v_fmac_f32_e32 v47, 0xbe903f40, v42
	v_fmac_f32_e32 v39, 0xbf0a6770, v42
	v_add_f32_e32 v44, v44, v46
	v_fmamk_f32 v46, v42, 0xbf68dda4, v16
	v_add_f32_e32 v19, v19, v20
	v_fmac_f32_e32 v16, 0x3f68dda4, v42
	v_add_f32_e32 v20, v47, v22
	v_fmamk_f32 v22, v40, 0x3e903f40, v41
	v_mul_f32_e32 v42, 0x3f575c64, v18
	v_mul_u32_u24_e32 v38, 0xb0, v38
	v_add_f32_e32 v43, v43, v52
	v_add_f32_e32 v16, v16, v17
	v_fmac_f32_e32 v41, 0xbe903f40, v40
	v_add_f32_e32 v17, v22, v36
	v_mul_f32_e32 v22, 0xbf27a4f4, v18
	v_fmamk_f32 v36, v40, 0xbf0a6770, v42
	v_or_b32_e32 v37, v38, v37
	v_add_f32_e32 v21, v41, v21
	v_add_f32_e32 v23, v46, v23
	v_fmamk_f32 v41, v40, 0x3f4178ce, v22
	v_add_f32_e32 v36, v36, v43
	v_mul_f32_e32 v43, 0x3ed4b147, v18
	v_mul_f32_e32 v18, 0xbe11bafb, v18
	v_lshlrev_b32_e32 v37, 2, v37
	v_add_f32_e32 v38, v41, v44
	v_add_f32_e32 v39, v39, v49
	v_fmamk_f32 v41, v40, 0xbf68dda4, v43
	v_fmamk_f32 v44, v40, 0x3f7d64f0, v18
	v_fmac_f32_e32 v43, 0x3f68dda4, v40
	v_fmac_f32_e32 v18, 0xbf7d64f0, v40
	v_fmac_f32_e32 v42, 0x3f0a6770, v40
	v_fmac_f32_e32 v22, 0xbf4178ce, v40
	v_add3_u32 v4, 0, v37, v4
	v_add_f32_e32 v19, v41, v19
	v_add_f32_e32 v23, v44, v23
	;; [unrolled: 1-line block ×6, first 2 shown]
	ds_write2_b32 v4, v15, v17 offset1:16
	ds_write2_b32 v4, v36, v38 offset0:32 offset1:48
	ds_write2_b32 v4, v19, v23 offset0:64 offset1:80
	;; [unrolled: 1-line block ×4, first 2 shown]
	ds_write_b32 v4, v21 offset:640
.LBB0_21:
	s_or_b32 exec_lo, exec_lo, s1
	s_waitcnt lgkmcnt(0)
	s_barrier
	buffer_gl0_inv
	s_and_saveexec_b32 s0, vcc_lo
	s_cbranch_execz .LBB0_23
; %bb.22:
	v_mov_b32_e32 v4, 0
	v_mul_hi_u32 v48, 0xba2e8ba3, v25
	v_add_nc_u32_e32 v23, 0x800, v31
	v_lshlrev_b64 v[15:16], 3, v[3:4]
	v_mov_b32_e32 v3, v4
	v_add_nc_u32_e32 v4, 0x600, v31
	v_lshlrev_b64 v[2:3], 3, v[2:3]
	v_add_co_u32 v19, vcc_lo, s8, v15
	v_add_co_ci_u32_e32 v20, vcc_lo, s9, v16, vcc_lo
	s_clause 0x1
	global_load_dwordx4 v[15:18], v[19:20], off offset:1392
	global_load_dwordx4 v[19:22], v[19:20], off offset:1408
	v_add_co_u32 v2, vcc_lo, s8, v2
	v_add_co_ci_u32_e32 v3, vcc_lo, s9, v3, vcc_lo
	s_clause 0x1
	global_load_dwordx4 v[36:39], v[2:3], off offset:1392
	global_load_dwordx4 v[40:43], v[2:3], off offset:1408
	ds_read_b32 v59, v35
	ds_read_b32 v60, v34
	;; [unrolled: 1-line block ×4, first 2 shown]
	ds_read_b32 v63, v31 offset:3168
	ds_read_b32 v64, v30
	v_mad_u64_u32 v[32:33], null, s2, v28, 0
	v_mad_u64_u32 v[30:31], null, s2, v27, 0
	;; [unrolled: 1-line block ×4, first 2 shown]
	v_add_co_u32 v65, vcc_lo, s12, v0
	ds_read2_b32 v[44:45], v4 offset0:56 offset1:144
	ds_read2_b32 v[46:47], v23 offset0:104 offset1:192
	v_mov_b32_e32 v23, v33
	v_lshrrev_b32_e32 v33, 7, v48
	v_add_co_ci_u32_e32 v66, vcc_lo, s13, v1, vcc_lo
	v_mad_u64_u32 v[0:1], null, s2, v26, 0
	v_mov_b32_e32 v4, v31
	v_mov_b32_e32 v31, v35
	v_mad_u32_u24 v52, 0x2c0, v33, v25
	v_mad_u64_u32 v[48:49], null, s3, v24, v[3:4]
	v_mad_u64_u32 v[23:24], null, s3, v28, v[23:24]
	;; [unrolled: 1-line block ×6, first 2 shown]
	v_add_nc_u32_e32 v54, 0xb0, v52
	v_add_nc_u32_e32 v56, 0x160, v52
	;; [unrolled: 1-line block ×4, first 2 shown]
	v_mov_b32_e32 v33, v23
	v_mov_b32_e32 v35, v24
	v_mad_u64_u32 v[23:24], null, s2, v54, 0
	v_mov_b32_e32 v3, v48
	v_mov_b32_e32 v31, v26
	v_mad_u64_u32 v[25:26], null, s2, v56, 0
	;; [unrolled: 3-line block ×3, first 2 shown]
	v_mad_u64_u32 v[50:51], null, s2, v58, 0
	v_lshlrev_b64 v[2:3], 3, v[2:3]
	v_lshlrev_b64 v[28:29], 3, v[30:31]
	;; [unrolled: 1-line block ×4, first 2 shown]
	v_mad_u64_u32 v[34:35], null, s3, v52, v[4:5]
	v_mov_b32_e32 v4, v24
	v_lshlrev_b64 v[0:1], 3, v[0:1]
	v_mov_b32_e32 v24, v26
	v_mov_b32_e32 v26, v49
	v_add_co_u32 v2, vcc_lo, v65, v2
	v_mov_b32_e32 v35, v51
	v_mad_u64_u32 v[54:55], null, s3, v54, v[4:5]
	v_add_co_ci_u32_e32 v3, vcc_lo, v66, v3, vcc_lo
	v_add_co_u32 v0, vcc_lo, v65, v0
	v_mad_u64_u32 v[55:56], null, s3, v56, v[24:25]
	v_add_co_ci_u32_e32 v1, vcc_lo, v66, v1, vcc_lo
	v_mad_u64_u32 v[56:57], null, s3, v57, v[26:27]
	v_add_co_u32 v52, vcc_lo, v65, v28
	v_mov_b32_e32 v28, v34
	v_mov_b32_e32 v24, v54
	v_add_co_ci_u32_e32 v53, vcc_lo, v66, v29, vcc_lo
	v_add_co_u32 v29, vcc_lo, v65, v30
	v_lshlrev_b64 v[27:28], 3, v[27:28]
	v_mov_b32_e32 v26, v55
	v_add_co_ci_u32_e32 v30, vcc_lo, v66, v31, vcc_lo
	v_add_co_u32 v31, vcc_lo, v65, v32
	v_mov_b32_e32 v49, v56
	v_lshlrev_b64 v[23:24], 3, v[23:24]
	v_add_co_ci_u32_e32 v32, vcc_lo, v66, v33, vcc_lo
	v_lshlrev_b64 v[25:26], 3, v[25:26]
	v_add_co_u32 v27, vcc_lo, v65, v27
	v_lshlrev_b64 v[33:34], 3, v[48:49]
	v_add_co_ci_u32_e32 v28, vcc_lo, v66, v28, vcc_lo
	v_add_co_u32 v23, vcc_lo, v65, v23
	v_add_co_ci_u32_e32 v24, vcc_lo, v66, v24, vcc_lo
	v_add_co_u32 v25, vcc_lo, v65, v25
	;; [unrolled: 2-line block ×3, first 2 shown]
	v_add_co_ci_u32_e32 v34, vcc_lo, v66, v34, vcc_lo
	s_waitcnt vmcnt(3)
	v_mul_f32_e32 v4, v5, v18
	s_waitcnt lgkmcnt(1)
	v_mul_f32_e32 v18, v44, v18
	v_fma_f32 v44, v44, v17, -v4
	v_fmac_f32_e32 v18, v5, v17
	s_waitcnt vmcnt(1)
	v_mad_u64_u32 v[57:58], null, s3, v58, v[35:36]
	v_mul_f32_e32 v35, v13, v16
	v_mul_f32_e32 v16, v60, v16
	;; [unrolled: 1-line block ×3, first 2 shown]
	v_fma_f32 v4, v60, v15, -v35
	v_mov_b32_e32 v51, v57
	v_fmac_f32_e32 v16, v13, v15
	s_waitcnt vmcnt(0)
	v_mul_f32_e32 v13, v8, v43
	v_mul_f32_e32 v15, v61, v37
	s_waitcnt lgkmcnt(0)
	v_mul_f32_e32 v37, v47, v43
	v_lshlrev_b64 v[48:49], 3, v[50:51]
	v_mul_f32_e32 v50, v7, v20
	v_mul_f32_e32 v51, v14, v22
	;; [unrolled: 1-line block ×4, first 2 shown]
	v_sub_f32_e32 v17, v44, v4
	v_fma_f32 v35, v46, v19, -v50
	v_fma_f32 v46, v63, v21, -v51
	v_fmac_f32_e32 v20, v7, v19
	v_fmac_f32_e32 v22, v14, v21
	v_mul_f32_e32 v7, v11, v39
	v_mul_f32_e32 v14, v6, v41
	v_mul_f32_e32 v19, v59, v39
	v_mul_f32_e32 v39, v45, v41
	v_add_co_u32 v48, vcc_lo, v65, v48
	v_sub_f32_e32 v50, v16, v22
	v_sub_f32_e32 v51, v18, v16
	;; [unrolled: 1-line block ×3, first 2 shown]
	v_add_f32_e32 v56, v16, v22
	v_sub_f32_e32 v65, v16, v18
	v_add_f32_e32 v16, v10, v16
	v_fma_f32 v59, v59, v38, -v7
	v_fma_f32 v45, v45, v40, -v14
	v_fmac_f32_e32 v19, v11, v38
	v_fmac_f32_e32 v39, v6, v40
	v_sub_f32_e32 v21, v35, v46
	v_add_f32_e32 v63, v44, v35
	v_add_f32_e32 v67, v18, v20
	;; [unrolled: 1-line block ×3, first 2 shown]
	v_fma_f32 v61, v61, v36, -v5
	v_fma_f32 v47, v47, v42, -v13
	v_fmac_f32_e32 v15, v12, v36
	v_fmac_f32_e32 v37, v8, v42
	v_add_f32_e32 v43, v4, v46
	v_sub_f32_e32 v58, v4, v44
	v_sub_f32_e32 v60, v46, v35
	v_add_co_ci_u32_e32 v49, vcc_lo, v66, v49, vcc_lo
	v_sub_f32_e32 v41, v18, v20
	v_sub_f32_e32 v66, v22, v20
	v_add_f32_e32 v38, v51, v54
	v_add_f32_e32 v14, v18, v16
	;; [unrolled: 1-line block ×5, first 2 shown]
	v_fma_f32 v7, -0.5, v63, v62
	v_fma_f32 v6, -0.5, v67, v10
	v_add_f32_e32 v8, v44, v68
	v_sub_f32_e32 v16, v61, v59
	v_sub_f32_e32 v17, v47, v45
	v_add_f32_e32 v63, v61, v47
	v_add_f32_e32 v67, v15, v37
	v_sub_f32_e32 v55, v4, v46
	v_fma_f32 v5, -0.5, v43, v62
	v_fma_f32 v4, -0.5, v56, v10
	v_add_f32_e32 v40, v58, v60
	v_sub_f32_e32 v56, v61, v47
	v_sub_f32_e32 v60, v59, v61
	v_add_f32_e32 v61, v61, v64
	v_add_f32_e32 v68, v9, v15
	;; [unrolled: 1-line block ×3, first 2 shown]
	v_sub_f32_e32 v43, v15, v37
	v_sub_f32_e32 v21, v15, v19
	;; [unrolled: 1-line block ×3, first 2 shown]
	v_add_f32_e32 v20, v14, v20
	v_fma_f32 v15, -0.5, v18, v64
	v_fma_f32 v14, -0.5, v54, v9
	v_sub_f32_e32 v57, v44, v35
	v_sub_f32_e32 v44, v19, v39
	v_sub_f32_e32 v51, v37, v39
	v_sub_f32_e32 v58, v59, v45
	v_add_f32_e32 v8, v35, v8
	v_add_f32_e32 v69, v16, v17
	v_fma_f32 v17, -0.5, v63, v64
	v_fma_f32 v16, -0.5, v67, v9
	v_fmamk_f32 v11, v41, 0x3f737871, v5
	v_fmac_f32_e32 v5, 0xbf737871, v41
	v_add_f32_e32 v35, v59, v61
	v_add_f32_e32 v59, v68, v19
	v_fmamk_f32 v19, v43, 0xbf737871, v15
	v_fmamk_f32 v18, v56, 0x3f737871, v14
	v_fmac_f32_e32 v15, 0x3f737871, v43
	v_fmac_f32_e32 v14, 0xbf737871, v56
	v_sub_f32_e32 v62, v45, v47
	v_sub_f32_e32 v66, v39, v37
	v_add_f32_e32 v51, v21, v51
	v_add_f32_e32 v9, v46, v8
	;; [unrolled: 1-line block ×3, first 2 shown]
	v_fmamk_f32 v21, v44, 0x3f737871, v17
	v_fmamk_f32 v20, v58, 0xbf737871, v16
	v_fmac_f32_e32 v17, 0xbf737871, v44
	v_fmac_f32_e32 v16, 0x3f737871, v58
	v_fmamk_f32 v10, v57, 0xbf737871, v4
	v_fmamk_f32 v13, v50, 0x3f737871, v7
	;; [unrolled: 1-line block ×3, first 2 shown]
	v_fmac_f32_e32 v7, 0xbf737871, v50
	v_fmac_f32_e32 v4, 0x3f737871, v57
	;; [unrolled: 1-line block ×5, first 2 shown]
	v_add_f32_e32 v22, v45, v35
	v_add_f32_e32 v35, v59, v39
	v_fmac_f32_e32 v15, 0x3f167918, v44
	v_fmac_f32_e32 v14, 0xbf167918, v58
	v_add_f32_e32 v54, v60, v62
	v_add_f32_e32 v60, v65, v66
	v_fmac_f32_e32 v17, 0x3f167918, v43
	v_fmac_f32_e32 v16, 0xbf167918, v56
	;; [unrolled: 1-line block ×14, first 2 shown]
	v_add_f32_e32 v36, v47, v22
	v_add_f32_e32 v35, v37, v35
	v_fmac_f32_e32 v15, 0x3e9e377a, v69
	v_fmac_f32_e32 v14, 0x3e9e377a, v51
	;; [unrolled: 1-line block ×14, first 2 shown]
	global_store_dwordx2 v[2:3], v[35:36], off
	global_store_dwordx2 v[0:1], v[14:15], off
	;; [unrolled: 1-line block ×10, first 2 shown]
.LBB0_23:
	s_endpgm
	.section	.rodata,"a",@progbits
	.p2align	6, 0x0
	.amdhsa_kernel fft_rtc_back_len880_factors_2_2_2_2_11_5_wgs_176_tpt_88_halfLds_sp_ip_CI_sbrr_dirReg
		.amdhsa_group_segment_fixed_size 0
		.amdhsa_private_segment_fixed_size 0
		.amdhsa_kernarg_size 88
		.amdhsa_user_sgpr_count 6
		.amdhsa_user_sgpr_private_segment_buffer 1
		.amdhsa_user_sgpr_dispatch_ptr 0
		.amdhsa_user_sgpr_queue_ptr 0
		.amdhsa_user_sgpr_kernarg_segment_ptr 1
		.amdhsa_user_sgpr_dispatch_id 0
		.amdhsa_user_sgpr_flat_scratch_init 0
		.amdhsa_user_sgpr_private_segment_size 0
		.amdhsa_wavefront_size32 1
		.amdhsa_uses_dynamic_stack 0
		.amdhsa_system_sgpr_private_segment_wavefront_offset 0
		.amdhsa_system_sgpr_workgroup_id_x 1
		.amdhsa_system_sgpr_workgroup_id_y 0
		.amdhsa_system_sgpr_workgroup_id_z 0
		.amdhsa_system_sgpr_workgroup_info 0
		.amdhsa_system_vgpr_workitem_id 0
		.amdhsa_next_free_vgpr 71
		.amdhsa_next_free_sgpr 23
		.amdhsa_reserve_vcc 1
		.amdhsa_reserve_flat_scratch 0
		.amdhsa_float_round_mode_32 0
		.amdhsa_float_round_mode_16_64 0
		.amdhsa_float_denorm_mode_32 3
		.amdhsa_float_denorm_mode_16_64 3
		.amdhsa_dx10_clamp 1
		.amdhsa_ieee_mode 1
		.amdhsa_fp16_overflow 0
		.amdhsa_workgroup_processor_mode 1
		.amdhsa_memory_ordered 1
		.amdhsa_forward_progress 0
		.amdhsa_shared_vgpr_count 0
		.amdhsa_exception_fp_ieee_invalid_op 0
		.amdhsa_exception_fp_denorm_src 0
		.amdhsa_exception_fp_ieee_div_zero 0
		.amdhsa_exception_fp_ieee_overflow 0
		.amdhsa_exception_fp_ieee_underflow 0
		.amdhsa_exception_fp_ieee_inexact 0
		.amdhsa_exception_int_div_zero 0
	.end_amdhsa_kernel
	.text
.Lfunc_end0:
	.size	fft_rtc_back_len880_factors_2_2_2_2_11_5_wgs_176_tpt_88_halfLds_sp_ip_CI_sbrr_dirReg, .Lfunc_end0-fft_rtc_back_len880_factors_2_2_2_2_11_5_wgs_176_tpt_88_halfLds_sp_ip_CI_sbrr_dirReg
                                        ; -- End function
	.section	.AMDGPU.csdata,"",@progbits
; Kernel info:
; codeLenInByte = 8368
; NumSgprs: 25
; NumVgprs: 71
; ScratchSize: 0
; MemoryBound: 0
; FloatMode: 240
; IeeeMode: 1
; LDSByteSize: 0 bytes/workgroup (compile time only)
; SGPRBlocks: 3
; VGPRBlocks: 8
; NumSGPRsForWavesPerEU: 25
; NumVGPRsForWavesPerEU: 71
; Occupancy: 12
; WaveLimiterHint : 1
; COMPUTE_PGM_RSRC2:SCRATCH_EN: 0
; COMPUTE_PGM_RSRC2:USER_SGPR: 6
; COMPUTE_PGM_RSRC2:TRAP_HANDLER: 0
; COMPUTE_PGM_RSRC2:TGID_X_EN: 1
; COMPUTE_PGM_RSRC2:TGID_Y_EN: 0
; COMPUTE_PGM_RSRC2:TGID_Z_EN: 0
; COMPUTE_PGM_RSRC2:TIDIG_COMP_CNT: 0
	.text
	.p2alignl 6, 3214868480
	.fill 48, 4, 3214868480
	.type	__hip_cuid_3b6702a6ca51278d,@object ; @__hip_cuid_3b6702a6ca51278d
	.section	.bss,"aw",@nobits
	.globl	__hip_cuid_3b6702a6ca51278d
__hip_cuid_3b6702a6ca51278d:
	.byte	0                               ; 0x0
	.size	__hip_cuid_3b6702a6ca51278d, 1

	.ident	"AMD clang version 19.0.0git (https://github.com/RadeonOpenCompute/llvm-project roc-6.4.0 25133 c7fe45cf4b819c5991fe208aaa96edf142730f1d)"
	.section	".note.GNU-stack","",@progbits
	.addrsig
	.addrsig_sym __hip_cuid_3b6702a6ca51278d
	.amdgpu_metadata
---
amdhsa.kernels:
  - .args:
      - .actual_access:  read_only
        .address_space:  global
        .offset:         0
        .size:           8
        .value_kind:     global_buffer
      - .offset:         8
        .size:           8
        .value_kind:     by_value
      - .actual_access:  read_only
        .address_space:  global
        .offset:         16
        .size:           8
        .value_kind:     global_buffer
      - .actual_access:  read_only
        .address_space:  global
        .offset:         24
        .size:           8
        .value_kind:     global_buffer
      - .offset:         32
        .size:           8
        .value_kind:     by_value
      - .actual_access:  read_only
        .address_space:  global
        .offset:         40
        .size:           8
        .value_kind:     global_buffer
      - .actual_access:  read_only
        .address_space:  global
        .offset:         48
        .size:           8
        .value_kind:     global_buffer
      - .offset:         56
        .size:           4
        .value_kind:     by_value
      - .actual_access:  read_only
        .address_space:  global
        .offset:         64
        .size:           8
        .value_kind:     global_buffer
      - .actual_access:  read_only
        .address_space:  global
        .offset:         72
        .size:           8
        .value_kind:     global_buffer
      - .address_space:  global
        .offset:         80
        .size:           8
        .value_kind:     global_buffer
    .group_segment_fixed_size: 0
    .kernarg_segment_align: 8
    .kernarg_segment_size: 88
    .language:       OpenCL C
    .language_version:
      - 2
      - 0
    .max_flat_workgroup_size: 176
    .name:           fft_rtc_back_len880_factors_2_2_2_2_11_5_wgs_176_tpt_88_halfLds_sp_ip_CI_sbrr_dirReg
    .private_segment_fixed_size: 0
    .sgpr_count:     25
    .sgpr_spill_count: 0
    .symbol:         fft_rtc_back_len880_factors_2_2_2_2_11_5_wgs_176_tpt_88_halfLds_sp_ip_CI_sbrr_dirReg.kd
    .uniform_work_group_size: 1
    .uses_dynamic_stack: false
    .vgpr_count:     71
    .vgpr_spill_count: 0
    .wavefront_size: 32
    .workgroup_processor_mode: 1
amdhsa.target:   amdgcn-amd-amdhsa--gfx1030
amdhsa.version:
  - 1
  - 2
...

	.end_amdgpu_metadata
